;; amdgpu-corpus repo=ROCm/rocFFT kind=compiled arch=gfx906 opt=O3
	.text
	.amdgcn_target "amdgcn-amd-amdhsa--gfx906"
	.amdhsa_code_object_version 6
	.protected	fft_rtc_back_len100_factors_5_5_4_wgs_200_tpt_25_halfLds_dp_ip_CI_sbcc_twdbase6_3step ; -- Begin function fft_rtc_back_len100_factors_5_5_4_wgs_200_tpt_25_halfLds_dp_ip_CI_sbcc_twdbase6_3step
	.globl	fft_rtc_back_len100_factors_5_5_4_wgs_200_tpt_25_halfLds_dp_ip_CI_sbcc_twdbase6_3step
	.p2align	8
	.type	fft_rtc_back_len100_factors_5_5_4_wgs_200_tpt_25_halfLds_dp_ip_CI_sbcc_twdbase6_3step,@function
fft_rtc_back_len100_factors_5_5_4_wgs_200_tpt_25_halfLds_dp_ip_CI_sbcc_twdbase6_3step: ; @fft_rtc_back_len100_factors_5_5_4_wgs_200_tpt_25_halfLds_dp_ip_CI_sbcc_twdbase6_3step
; %bb.0:
	s_load_dwordx8 s[8:15], s[4:5], 0x8
	s_movk_i32 s0, 0xc0
	v_cmp_gt_u32_e32 vcc, s0, v0
	s_and_saveexec_b64 s[0:1], vcc
	s_cbranch_execz .LBB0_2
; %bb.1:
	v_lshlrev_b32_e32 v5, 4, v0
	s_waitcnt lgkmcnt(0)
	global_load_dwordx4 v[1:4], v5, s[8:9]
	v_add_u32_e32 v5, 0, v5
	v_add_u32_e32 v5, 0x1900, v5
	s_waitcnt vmcnt(0)
	ds_write2_b64 v5, v[1:2], v[3:4] offset1:1
.LBB0_2:
	s_or_b64 exec, exec, s[0:1]
	s_waitcnt lgkmcnt(0)
	s_load_dwordx2 s[20:21], s[12:13], 0x8
	s_mov_b32 s7, 0
	s_mov_b64 s[24:25], 0
	s_waitcnt lgkmcnt(0)
	s_add_u32 s0, s20, -1
	s_addc_u32 s1, s21, -1
	s_lshr_b64 s[0:1], s[0:1], 3
	s_add_u32 s22, s0, 1
	s_addc_u32 s23, s1, 0
	v_mov_b32_e32 v1, s22
	v_mov_b32_e32 v2, s23
	v_cmp_lt_u64_e32 vcc, s[6:7], v[1:2]
	s_cbranch_vccnz .LBB0_4
; %bb.3:
	v_cvt_f32_u32_e32 v1, s22
	s_sub_i32 s0, 0, s22
	s_mov_b32 s25, s7
	v_rcp_iflag_f32_e32 v1, v1
	v_mul_f32_e32 v1, 0x4f7ffffe, v1
	v_cvt_u32_f32_e32 v1, v1
	v_readfirstlane_b32 s1, v1
	s_mul_i32 s0, s0, s1
	s_mul_hi_u32 s0, s1, s0
	s_add_i32 s1, s1, s0
	s_mul_hi_u32 s0, s6, s1
	s_mul_i32 s2, s0, s22
	s_sub_i32 s2, s6, s2
	s_add_i32 s1, s0, 1
	s_sub_i32 s3, s2, s22
	s_cmp_ge_u32 s2, s22
	s_cselect_b32 s0, s1, s0
	s_cselect_b32 s2, s3, s2
	s_add_i32 s1, s0, 1
	s_cmp_ge_u32 s2, s22
	s_cselect_b32 s24, s1, s0
.LBB0_4:
	s_load_dwordx4 s[16:19], s[14:15], 0x0
	s_mul_i32 s0, s24, s23
	s_mul_hi_u32 s1, s24, s22
	s_add_i32 s1, s1, s0
	s_mul_i32 s0, s24, s22
	s_sub_u32 s0, s6, s0
	s_subb_u32 s1, 0, s1
	v_mov_b32_e32 v1, s0
	v_alignbit_b32 v1, s1, v1, 29
	s_waitcnt lgkmcnt(0)
	v_mul_lo_u32 v1, s18, v1
	s_load_dwordx2 s[2:3], s[4:5], 0x58
	s_load_dwordx2 s[8:9], s[4:5], 0x0
	s_lshl_b64 s[4:5], s[0:1], 3
	s_mul_hi_u32 s0, s18, s4
	v_add_u32_e32 v1, s0, v1
	s_mul_i32 s0, s19, s4
	v_add_u32_e32 v3, s0, v1
	v_cmp_lt_u64_e64 s[0:1], s[10:11], 3
	s_mul_i32 s26, s18, s4
	v_mov_b32_e32 v4, s26
	s_and_b64 vcc, exec, s[0:1]
	s_cbranch_vccnz .LBB0_13
; %bb.5:
	s_add_u32 s26, s14, 16
	s_addc_u32 s27, s15, 0
	s_add_u32 s12, s12, 16
	v_mov_b32_e32 v1, s10
	s_addc_u32 s13, s13, 0
	s_mov_b64 s[28:29], 2
	s_mov_b32 s30, 0
	v_mov_b32_e32 v2, s11
	s_branch .LBB0_7
.LBB0_6:                                ;   in Loop: Header=BB0_7 Depth=1
	s_mul_i32 s23, s34, s23
	s_mul_hi_u32 s31, s34, s22
	s_add_i32 s23, s31, s23
	s_mul_i32 s31, s35, s22
	s_add_i32 s23, s23, s31
	s_mul_i32 s31, s0, s35
	s_mul_hi_u32 s33, s0, s34
	s_load_dwordx2 s[36:37], s[26:27], 0x0
	s_add_i32 s31, s33, s31
	s_mul_i32 s33, s1, s34
	s_add_i32 s31, s31, s33
	s_mul_i32 s33, s0, s34
	s_sub_u32 s24, s24, s33
	s_subb_u32 s25, s25, s31
	s_waitcnt lgkmcnt(0)
	s_mul_i32 s25, s36, s25
	s_mul_hi_u32 s31, s36, s24
	s_add_i32 s25, s31, s25
	s_mul_i32 s31, s37, s24
	s_add_i32 s25, s25, s31
	s_mul_i32 s24, s36, s24
	s_add_u32 s28, s28, 1
	v_mov_b32_e32 v5, s25
	v_add_co_u32_e32 v4, vcc, s24, v4
	s_addc_u32 s29, s29, 0
	v_addc_co_u32_e32 v3, vcc, v5, v3, vcc
	s_add_u32 s26, s26, 8
	s_addc_u32 s27, s27, 0
	v_cmp_ge_u64_e32 vcc, s[28:29], v[1:2]
	s_add_u32 s12, s12, 8
	s_mul_i32 s22, s34, s22
	s_addc_u32 s13, s13, 0
	s_mov_b64 s[24:25], s[0:1]
	s_cbranch_vccnz .LBB0_11
.LBB0_7:                                ; =>This Inner Loop Header: Depth=1
	s_load_dwordx2 s[34:35], s[12:13], 0x0
	s_waitcnt lgkmcnt(0)
	s_or_b64 s[0:1], s[24:25], s[34:35]
	s_mov_b32 s31, s1
	s_cmp_lg_u64 s[30:31], 0
	s_cbranch_scc0 .LBB0_9
; %bb.8:                                ;   in Loop: Header=BB0_7 Depth=1
	v_cvt_f32_u32_e32 v5, s34
	v_cvt_f32_u32_e32 v6, s35
	s_sub_u32 s0, 0, s34
	s_subb_u32 s1, 0, s35
	v_mac_f32_e32 v5, 0x4f800000, v6
	v_rcp_f32_e32 v5, v5
	v_mul_f32_e32 v5, 0x5f7ffffc, v5
	v_mul_f32_e32 v6, 0x2f800000, v5
	v_trunc_f32_e32 v6, v6
	v_mac_f32_e32 v5, 0xcf800000, v6
	v_cvt_u32_f32_e32 v6, v6
	v_cvt_u32_f32_e32 v5, v5
	v_readfirstlane_b32 s31, v6
	v_readfirstlane_b32 s33, v5
	s_mul_i32 s36, s0, s31
	s_mul_hi_u32 s38, s0, s33
	s_mul_i32 s37, s1, s33
	s_add_i32 s36, s38, s36
	s_mul_i32 s39, s0, s33
	s_add_i32 s36, s36, s37
	s_mul_hi_u32 s37, s33, s36
	s_mul_i32 s38, s33, s36
	s_mul_hi_u32 s33, s33, s39
	s_add_u32 s33, s33, s38
	s_addc_u32 s37, 0, s37
	s_mul_hi_u32 s40, s31, s39
	s_mul_i32 s39, s31, s39
	s_add_u32 s33, s33, s39
	s_mul_hi_u32 s38, s31, s36
	s_addc_u32 s33, s37, s40
	s_addc_u32 s37, s38, 0
	s_mul_i32 s36, s31, s36
	s_add_u32 s33, s33, s36
	s_addc_u32 s36, 0, s37
	v_add_co_u32_e32 v5, vcc, s33, v5
	s_cmp_lg_u64 vcc, 0
	s_addc_u32 s31, s31, s36
	v_readfirstlane_b32 s36, v5
	s_mul_i32 s33, s0, s31
	s_mul_hi_u32 s37, s0, s36
	s_add_i32 s33, s37, s33
	s_mul_i32 s1, s1, s36
	s_add_i32 s33, s33, s1
	s_mul_i32 s0, s0, s36
	s_mul_hi_u32 s37, s31, s0
	s_mul_i32 s38, s31, s0
	s_mul_i32 s40, s36, s33
	s_mul_hi_u32 s0, s36, s0
	s_mul_hi_u32 s39, s36, s33
	s_add_u32 s0, s0, s40
	s_addc_u32 s36, 0, s39
	s_add_u32 s0, s0, s38
	s_mul_hi_u32 s1, s31, s33
	s_addc_u32 s0, s36, s37
	s_addc_u32 s1, s1, 0
	s_mul_i32 s33, s31, s33
	s_add_u32 s0, s0, s33
	s_addc_u32 s1, 0, s1
	v_add_co_u32_e32 v5, vcc, s0, v5
	s_cmp_lg_u64 vcc, 0
	s_addc_u32 s0, s31, s1
	v_readfirstlane_b32 s33, v5
	s_mul_i32 s31, s24, s0
	s_mul_hi_u32 s36, s24, s33
	s_mul_hi_u32 s1, s24, s0
	s_add_u32 s31, s36, s31
	s_addc_u32 s1, 0, s1
	s_mul_hi_u32 s37, s25, s33
	s_mul_i32 s33, s25, s33
	s_add_u32 s31, s31, s33
	s_mul_hi_u32 s36, s25, s0
	s_addc_u32 s1, s1, s37
	s_addc_u32 s31, s36, 0
	s_mul_i32 s0, s25, s0
	s_add_u32 s33, s1, s0
	s_addc_u32 s31, 0, s31
	s_mul_i32 s0, s34, s31
	s_mul_hi_u32 s1, s34, s33
	s_add_i32 s0, s1, s0
	s_mul_i32 s1, s35, s33
	s_add_i32 s36, s0, s1
	s_mul_i32 s1, s34, s33
	v_mov_b32_e32 v5, s1
	s_sub_i32 s0, s25, s36
	v_sub_co_u32_e32 v5, vcc, s24, v5
	s_cmp_lg_u64 vcc, 0
	s_subb_u32 s37, s0, s35
	v_subrev_co_u32_e64 v6, s[0:1], s34, v5
	s_cmp_lg_u64 s[0:1], 0
	s_subb_u32 s0, s37, 0
	s_cmp_ge_u32 s0, s35
	v_readfirstlane_b32 s37, v6
	s_cselect_b32 s1, -1, 0
	s_cmp_ge_u32 s37, s34
	s_cselect_b32 s37, -1, 0
	s_cmp_eq_u32 s0, s35
	s_cselect_b32 s0, s37, s1
	s_add_u32 s1, s33, 1
	s_addc_u32 s37, s31, 0
	s_add_u32 s38, s33, 2
	s_addc_u32 s39, s31, 0
	s_cmp_lg_u32 s0, 0
	s_cselect_b32 s0, s38, s1
	s_cselect_b32 s1, s39, s37
	s_cmp_lg_u64 vcc, 0
	s_subb_u32 s36, s25, s36
	s_cmp_ge_u32 s36, s35
	v_readfirstlane_b32 s38, v5
	s_cselect_b32 s37, -1, 0
	s_cmp_ge_u32 s38, s34
	s_cselect_b32 s38, -1, 0
	s_cmp_eq_u32 s36, s35
	s_cselect_b32 s36, s38, s37
	s_cmp_lg_u32 s36, 0
	s_cselect_b32 s1, s1, s31
	s_cselect_b32 s0, s0, s33
	s_cbranch_execnz .LBB0_6
	s_branch .LBB0_10
.LBB0_9:                                ;   in Loop: Header=BB0_7 Depth=1
                                        ; implicit-def: $sgpr0_sgpr1
.LBB0_10:                               ;   in Loop: Header=BB0_7 Depth=1
	v_cvt_f32_u32_e32 v5, s34
	s_sub_i32 s0, 0, s34
	v_rcp_iflag_f32_e32 v5, v5
	v_mul_f32_e32 v5, 0x4f7ffffe, v5
	v_cvt_u32_f32_e32 v5, v5
	v_readfirstlane_b32 s1, v5
	s_mul_i32 s0, s0, s1
	s_mul_hi_u32 s0, s1, s0
	s_add_i32 s1, s1, s0
	s_mul_hi_u32 s0, s24, s1
	s_mul_i32 s31, s0, s34
	s_sub_i32 s31, s24, s31
	s_add_i32 s1, s0, 1
	s_sub_i32 s33, s31, s34
	s_cmp_ge_u32 s31, s34
	s_cselect_b32 s0, s1, s0
	s_cselect_b32 s31, s33, s31
	s_add_i32 s1, s0, 1
	s_cmp_ge_u32 s31, s34
	s_cselect_b32 s0, s1, s0
	s_mov_b32 s1, s30
	s_branch .LBB0_6
.LBB0_11:
	v_mov_b32_e32 v1, s22
	v_mov_b32_e32 v2, s23
	v_cmp_lt_u64_e32 vcc, s[6:7], v[1:2]
	s_mov_b64 s[24:25], 0
	s_cbranch_vccnz .LBB0_13
; %bb.12:
	v_cvt_f32_u32_e32 v1, s22
	s_sub_i32 s0, 0, s22
	v_rcp_iflag_f32_e32 v1, v1
	v_mul_f32_e32 v1, 0x4f7ffffe, v1
	v_cvt_u32_f32_e32 v1, v1
	v_readfirstlane_b32 s1, v1
	s_mul_i32 s0, s0, s1
	s_mul_hi_u32 s0, s1, s0
	s_add_i32 s1, s1, s0
	s_mul_hi_u32 s0, s6, s1
	s_mul_i32 s7, s0, s22
	s_sub_i32 s6, s6, s7
	s_add_i32 s1, s0, 1
	s_sub_i32 s7, s6, s22
	s_cmp_ge_u32 s6, s22
	s_cselect_b32 s0, s1, s0
	s_cselect_b32 s6, s7, s6
	s_add_i32 s1, s0, 1
	s_cmp_ge_u32 s6, s22
	s_cselect_b32 s24, s1, s0
.LBB0_13:
	s_lshl_b64 s[0:1], s[10:11], 3
	s_add_u32 s0, s14, s0
	s_addc_u32 s1, s15, s1
	s_load_dwordx2 s[0:1], s[0:1], 0x0
	v_and_b32_e32 v33, 7, v0
	v_lshrrev_b32_e32 v30, 3, v0
	v_lshlrev_b32_e32 v34, 4, v30
	v_add_u32_e32 v32, 25, v30
	s_waitcnt lgkmcnt(0)
	s_mul_i32 s1, s1, s24
	s_mul_hi_u32 s6, s0, s24
	s_mul_i32 s0, s0, s24
	s_add_i32 s1, s6, s1
	v_mov_b32_e32 v2, s1
	v_add_co_u32_e32 v1, vcc, s0, v4
	v_addc_co_u32_e32 v2, vcc, v2, v3, vcc
	s_add_u32 s0, s4, 8
	v_mov_b32_e32 v3, s20
	s_addc_u32 s1, s5, 0
	v_mov_b32_e32 v4, s21
	v_cmp_le_u64_e32 vcc, s[0:1], v[3:4]
	v_or_b32_e32 v3, s4, v33
	v_mov_b32_e32 v4, s5
	v_cmp_gt_u64_e64 s[0:1], s[20:21], v[3:4]
	v_lshlrev_b64 v[24:25], 4, v[1:2]
	s_or_b64 s[0:1], vcc, s[0:1]
	v_add_u32_e32 v31, 50, v30
	s_and_saveexec_b64 s[6:7], s[0:1]
	s_cbranch_execz .LBB0_15
; %bb.14:
	v_mad_u64_u32 v[1:2], s[10:11], s18, v33, 0
	v_mad_u64_u32 v[3:4], s[10:11], s16, v30, 0
	;; [unrolled: 1-line block ×3, first 2 shown]
	v_mov_b32_e32 v2, v4
	v_mad_u64_u32 v[6:7], s[10:11], s17, v30, v[2:3]
	v_mov_b32_e32 v2, v5
	v_mov_b32_e32 v5, s3
	v_add_co_u32_e32 v7, vcc, s2, v24
	v_mov_b32_e32 v4, v6
	v_addc_co_u32_e32 v8, vcc, v5, v25, vcc
	v_mad_u64_u32 v[5:6], s[10:11], s16, v32, 0
	v_lshlrev_b64 v[1:2], 4, v[1:2]
	v_add_co_u32_e32 v9, vcc, v7, v1
	v_addc_co_u32_e32 v10, vcc, v8, v2, vcc
	v_lshlrev_b64 v[1:2], 4, v[3:4]
	v_mov_b32_e32 v3, v6
	v_mad_u64_u32 v[3:4], s[10:11], s17, v32, v[3:4]
	v_mad_u64_u32 v[7:8], s[10:11], s16, v31, 0
	v_add_co_u32_e32 v17, vcc, v9, v1
	v_mov_b32_e32 v6, v3
	v_mov_b32_e32 v3, v8
	v_addc_co_u32_e32 v18, vcc, v10, v2, vcc
	v_lshlrev_b64 v[1:2], 4, v[5:6]
	v_mad_u64_u32 v[3:4], s[10:11], s17, v31, v[3:4]
	v_add_u32_e32 v6, 0x4b, v30
	v_mad_u64_u32 v[4:5], s[10:11], s16, v6, 0
	v_mov_b32_e32 v8, v3
	v_add_co_u32_e32 v19, vcc, v9, v1
	v_mov_b32_e32 v3, v5
	v_mad_u64_u32 v[5:6], s[10:11], s17, v6, v[3:4]
	v_addc_co_u32_e32 v20, vcc, v10, v2, vcc
	v_lshlrev_b64 v[1:2], 4, v[7:8]
	v_add_co_u32_e32 v21, vcc, v9, v1
	v_addc_co_u32_e32 v22, vcc, v10, v2, vcc
	v_lshlrev_b64 v[1:2], 4, v[4:5]
	v_add_co_u32_e32 v26, vcc, v9, v1
	v_addc_co_u32_e32 v27, vcc, v10, v2, vcc
	global_load_dwordx4 v[1:4], v[17:18], off
	global_load_dwordx4 v[5:8], v[19:20], off
	;; [unrolled: 1-line block ×4, first 2 shown]
	v_mul_u32_u24_e32 v17, 0x640, v33
	v_add3_u32 v17, 0, v17, v34
	s_waitcnt vmcnt(3)
	ds_write_b128 v17, v[1:4]
	s_waitcnt vmcnt(2)
	ds_write_b128 v17, v[5:8] offset:400
	s_waitcnt vmcnt(1)
	ds_write_b128 v17, v[9:12] offset:800
	s_waitcnt vmcnt(0)
	ds_write_b128 v17, v[13:16] offset:1200
.LBB0_15:
	s_or_b64 exec, exec, s[6:7]
	s_mov_b32 s5, 0xa3d70a4
	v_mul_hi_u32 v36, v0, s5
	s_waitcnt lgkmcnt(0)
	s_barrier
	v_mul_u32_u24_e32 v1, 25, v36
	v_and_b32_e32 v41, 7, v36
	v_sub_u32_e32 v37, v0, v1
	v_mul_u32_u24_e32 v40, 0x64, v41
	v_lshlrev_b32_e32 v21, 4, v37
	v_lshlrev_b32_e32 v20, 4, v40
	v_add_u32_e32 v42, 0, v21
	v_add_u32_e32 v35, v42, v20
	ds_read_b128 v[4:7], v35 offset:320
	ds_read_b128 v[8:11], v35 offset:640
	;; [unrolled: 1-line block ×4, first 2 shown]
	v_add_u32_e32 v43, 0, v20
	v_add_u32_e32 v20, v43, v21
	s_waitcnt lgkmcnt(2)
	v_add_f64 v[0:1], v[8:9], -v[4:5]
	s_waitcnt lgkmcnt(1)
	v_add_f64 v[28:29], v[8:9], v[16:17]
	s_waitcnt lgkmcnt(0)
	v_add_f64 v[2:3], v[16:17], -v[12:13]
	v_add_f64 v[26:27], v[4:5], v[12:13]
	ds_read_b128 v[20:23], v20
	v_add_f64 v[38:39], v[6:7], -v[14:15]
	s_mov_b32 s6, 0x134454ff
	s_mov_b32 s7, 0xbfee6f0e
	;; [unrolled: 1-line block ×3, first 2 shown]
	s_waitcnt lgkmcnt(0)
	v_fma_f64 v[28:29], v[28:29], -0.5, v[20:21]
	v_add_f64 v[0:1], v[0:1], v[2:3]
	v_fma_f64 v[2:3], v[26:27], -0.5, v[20:21]
	v_add_f64 v[26:27], v[10:11], -v[18:19]
	v_add_f64 v[20:21], v[20:21], v[4:5]
	s_mov_b32 s12, s6
	v_add_f64 v[46:47], v[4:5], -v[8:9]
	v_add_f64 v[48:49], v[12:13], -v[16:17]
	v_fma_f64 v[50:51], v[38:39], s[6:7], v[28:29]
	v_fma_f64 v[28:29], v[38:39], s[12:13], v[28:29]
	s_mov_b32 s10, 0x4755a5e
	v_fma_f64 v[44:45], v[26:27], s[12:13], v[2:3]
	v_fma_f64 v[2:3], v[26:27], s[6:7], v[2:3]
	v_add_f64 v[20:21], v[20:21], v[8:9]
	s_mov_b32 s11, 0xbfe2cf23
	s_mov_b32 s7, 0x3fe2cf23
	;; [unrolled: 1-line block ×3, first 2 shown]
	v_cmp_gt_u32_e32 vcc, 20, v37
	v_fma_f64 v[44:45], v[38:39], s[10:11], v[44:45]
	v_fma_f64 v[2:3], v[38:39], s[6:7], v[2:3]
	v_add_f64 v[38:39], v[46:47], v[48:49]
	v_add_f64 v[20:21], v[20:21], v[16:17]
	v_fma_f64 v[46:47], v[26:27], s[10:11], v[50:51]
	v_fma_f64 v[48:49], v[26:27], s[6:7], v[28:29]
	s_mov_b32 s6, 0x372fe950
	s_mov_b32 s7, 0x3fd3c6ef
	v_fma_f64 v[26:27], v[0:1], s[6:7], v[44:45]
	v_fma_f64 v[0:1], v[0:1], s[6:7], v[2:3]
	v_add_f64 v[20:21], v[20:21], v[12:13]
	v_fma_f64 v[28:29], v[38:39], s[6:7], v[46:47]
	v_fma_f64 v[2:3], v[38:39], s[6:7], v[48:49]
	v_lshlrev_b32_e32 v38, 3, v40
	s_and_saveexec_b64 s[6:7], vcc
	s_cbranch_execz .LBB0_17
; %bb.16:
	v_mul_i32_i24_e32 v39, 24, v37
	v_add3_u32 v39, v42, v39, v38
	ds_write2_b64 v39, v[20:21], v[28:29] offset1:1
	ds_write2_b64 v39, v[26:27], v[0:1] offset0:2 offset1:3
	ds_write_b64 v39, v[2:3] offset:32
.LBB0_17:
	s_or_b64 exec, exec, s[6:7]
	v_lshlrev_b32_e32 v39, 3, v37
	s_waitcnt lgkmcnt(0)
	s_barrier
	s_and_saveexec_b64 s[6:7], vcc
	s_cbranch_execz .LBB0_19
; %bb.18:
	v_sub_u32_e32 v1, v42, v39
	v_lshl_add_u32 v1, v40, 3, v1
	v_mul_i32_i24_e32 v0, 0xfffffce0, v41
	ds_read2_b64 v[44:47], v1 offset0:20 offset1:40
	v_add3_u32 v20, v43, v0, v39
	ds_read2_b64 v[0:3], v1 offset0:60 offset1:80
	ds_read_b64 v[20:21], v20
	s_waitcnt lgkmcnt(2)
	v_mov_b32_e32 v28, v44
	v_mov_b32_e32 v26, v46
	;; [unrolled: 1-line block ×4, first 2 shown]
.LBB0_19:
	s_or_b64 exec, exec, s[6:7]
	v_add_f64 v[40:41], v[10:11], v[18:19]
	v_add_f64 v[4:5], v[4:5], -v[12:13]
	v_add_f64 v[12:13], v[6:7], v[14:15]
	v_add_f64 v[42:43], v[22:23], v[6:7]
	v_add_f64 v[8:9], v[8:9], -v[16:17]
	s_mov_b32 s6, 0x134454ff
	s_mov_b32 s7, 0x3fee6f0e
	;; [unrolled: 1-line block ×3, first 2 shown]
	v_fma_f64 v[16:17], v[40:41], -0.5, v[22:23]
	s_mov_b32 s12, s6
	v_fma_f64 v[12:13], v[12:13], -0.5, v[22:23]
	v_add_f64 v[40:41], v[6:7], -v[10:11]
	v_add_f64 v[44:45], v[14:15], -v[18:19]
	;; [unrolled: 1-line block ×3, first 2 shown]
	v_add_f64 v[10:11], v[42:43], v[10:11]
	v_add_f64 v[42:43], v[18:19], -v[14:15]
	v_fma_f64 v[22:23], v[4:5], s[6:7], v[16:17]
	v_fma_f64 v[16:17], v[4:5], s[12:13], v[16:17]
	;; [unrolled: 1-line block ×4, first 2 shown]
	s_mov_b32 s10, 0x4755a5e
	s_mov_b32 s11, 0x3fe2cf23
	;; [unrolled: 1-line block ×4, first 2 shown]
	v_add_f64 v[40:41], v[40:41], v[44:45]
	v_add_f64 v[10:11], v[10:11], v[18:19]
	v_fma_f64 v[18:19], v[8:9], s[10:11], v[22:23]
	v_fma_f64 v[16:17], v[8:9], s[6:7], v[16:17]
	;; [unrolled: 1-line block ×3, first 2 shown]
	v_add_f64 v[42:43], v[6:7], v[42:43]
	v_fma_f64 v[4:5], v[4:5], s[6:7], v[12:13]
	s_mov_b32 s6, 0x372fe950
	s_mov_b32 s7, 0x3fd3c6ef
	v_add_f64 v[8:9], v[10:11], v[14:15]
	v_fma_f64 v[12:13], v[40:41], s[6:7], v[18:19]
	v_fma_f64 v[6:7], v[40:41], s[6:7], v[16:17]
	s_waitcnt lgkmcnt(0)
	v_fma_f64 v[10:11], v[42:43], s[6:7], v[22:23]
	v_fma_f64 v[4:5], v[42:43], s[6:7], v[4:5]
	s_barrier
	s_and_saveexec_b64 s[6:7], vcc
	s_cbranch_execz .LBB0_21
; %bb.20:
	v_mul_i32_i24_e32 v14, 40, v37
	v_add3_u32 v14, 0, v14, v38
	ds_write2_b64 v14, v[8:9], v[12:13] offset1:1
	ds_write2_b64 v14, v[10:11], v[4:5] offset0:2 offset1:3
	ds_write_b64 v14, v[6:7] offset:32
.LBB0_21:
	s_or_b64 exec, exec, s[6:7]
	s_waitcnt lgkmcnt(0)
	s_barrier
	s_and_saveexec_b64 s[6:7], vcc
	s_cbranch_execz .LBB0_23
; %bb.22:
	v_add3_u32 v8, 0, v39, v38
	ds_read2_b64 v[4:7], v8 offset0:60 offset1:80
	ds_read2_b64 v[12:15], v8 offset0:20 offset1:40
	v_add3_u32 v8, 0, v38, v39
	ds_read_b64 v[8:9], v8
	s_waitcnt lgkmcnt(1)
	v_mov_b32_e32 v10, v14
	v_mov_b32_e32 v11, v15
.LBB0_23:
	s_or_b64 exec, exec, s[6:7]
	s_movk_i32 s5, 0xcd
	v_mul_lo_u16_sdwa v14, v37, s5 dst_sel:DWORD dst_unused:UNUSED_PAD src0_sel:BYTE_0 src1_sel:DWORD
	v_lshrrev_b16_e32 v58, 10, v14
	v_mul_lo_u16_e32 v14, 5, v58
	v_sub_u16_e32 v14, v37, v14
	v_and_b32_e32 v59, 0xff, v14
	v_lshlrev_b32_e32 v18, 6, v59
	global_load_dwordx4 v[14:17], v18, s[8:9]
	global_load_dwordx4 v[40:43], v18, s[8:9] offset:16
	global_load_dwordx4 v[44:47], v18, s[8:9] offset:32
	;; [unrolled: 1-line block ×3, first 2 shown]
	s_waitcnt vmcnt(0) lgkmcnt(0)
	s_barrier
	v_mul_f64 v[18:19], v[12:13], v[16:17]
	v_mul_f64 v[16:17], v[28:29], v[16:17]
	;; [unrolled: 1-line block ×8, first 2 shown]
	v_fma_f64 v[22:23], v[28:29], v[14:15], v[18:19]
	v_fma_f64 v[12:13], v[12:13], v[14:15], -v[16:17]
	v_fma_f64 v[16:17], v[26:27], v[40:41], v[52:53]
	v_fma_f64 v[14:15], v[10:11], v[40:41], -v[42:43]
	;; [unrolled: 2-line block ×4, first 2 shown]
	v_mul_lo_u16_e32 v28, 25, v58
	v_lshl_add_u32 v29, v59, 3, 0
	s_and_saveexec_b64 s[6:7], vcc
	s_cbranch_execz .LBB0_25
; %bb.24:
	v_add_f64 v[0:1], v[22:23], v[26:27]
	v_add_f64 v[40:41], v[16:17], v[18:19]
	v_add_f64 v[42:43], v[12:13], -v[4:5]
	v_add_f64 v[44:45], v[14:15], -v[10:11]
	s_mov_b32 s10, 0x134454ff
	s_mov_b32 s11, 0xbfee6f0e
	v_add_f64 v[2:3], v[16:17], -v[22:23]
	v_add_f64 v[6:7], v[18:19], -v[26:27]
	v_fma_f64 v[0:1], v[0:1], -0.5, v[20:21]
	v_fma_f64 v[40:41], v[40:41], -0.5, v[20:21]
	v_add_f64 v[20:21], v[20:21], v[22:23]
	s_mov_b32 s15, 0x3fee6f0e
	v_add_f64 v[46:47], v[22:23], -v[16:17]
	v_add_f64 v[50:51], v[26:27], -v[18:19]
	s_mov_b32 s14, s10
	s_mov_b32 s12, 0x4755a5e
	v_fma_f64 v[48:49], v[44:45], s[10:11], v[0:1]
	v_fma_f64 v[52:53], v[42:43], s[10:11], v[40:41]
	v_add_f64 v[20:21], v[20:21], v[16:17]
	v_fma_f64 v[0:1], v[44:45], s[14:15], v[0:1]
	v_fma_f64 v[40:41], v[42:43], s[14:15], v[40:41]
	s_mov_b32 s13, 0x3fe2cf23
	s_mov_b32 s21, 0xbfe2cf23
	s_mov_b32 s20, s12
	v_add_f64 v[2:3], v[2:3], v[6:7]
	v_fma_f64 v[6:7], v[42:43], s[12:13], v[48:49]
	v_add_f64 v[46:47], v[46:47], v[50:51]
	v_fma_f64 v[48:49], v[44:45], s[20:21], v[52:53]
	;; [unrolled: 2-line block ×3, first 2 shown]
	v_fma_f64 v[40:41], v[44:45], s[12:13], v[40:41]
	s_mov_b32 s10, 0x372fe950
	s_mov_b32 s11, 0x3fd3c6ef
	v_fma_f64 v[6:7], v[2:3], s[10:11], v[6:7]
	v_fma_f64 v[42:43], v[46:47], s[10:11], v[48:49]
	v_add_f64 v[20:21], v[20:21], v[26:27]
	v_fma_f64 v[0:1], v[2:3], s[10:11], v[0:1]
	v_fma_f64 v[2:3], v[46:47], s[10:11], v[40:41]
	v_mov_b32_e32 v40, 3
	v_lshlrev_b32_sdwa v40, v40, v28 dst_sel:DWORD dst_unused:UNUSED_PAD src0_sel:DWORD src1_sel:BYTE_0
	v_add3_u32 v40, v29, v40, v38
	ds_write2_b64 v40, v[20:21], v[42:43] offset1:5
	ds_write2_b64 v40, v[0:1], v[6:7] offset0:10 offset1:15
	ds_write_b64 v40, v[2:3] offset:160
.LBB0_25:
	s_or_b64 exec, exec, s[6:7]
	v_add3_u32 v40, 0, v38, v39
	v_add3_u32 v39, 0, v39, v38
	s_waitcnt lgkmcnt(0)
	s_barrier
	ds_read2_b64 v[0:3], v39 offset0:25 offset1:50
	ds_read_b64 v[6:7], v40
	ds_read_b64 v[20:21], v39 offset:600
	s_waitcnt lgkmcnt(0)
	s_barrier
	s_and_saveexec_b64 s[6:7], vcc
	s_cbranch_execz .LBB0_27
; %bb.26:
	v_add_f64 v[41:42], v[14:15], v[10:11]
	v_add_f64 v[22:23], v[22:23], -v[26:27]
	v_add_f64 v[26:27], v[12:13], v[4:5]
	v_add_f64 v[43:44], v[8:9], v[12:13]
	v_add_f64 v[16:17], v[16:17], -v[18:19]
	s_mov_b32 s10, 0x134454ff
	s_mov_b32 s11, 0x3fee6f0e
	;; [unrolled: 1-line block ×3, first 2 shown]
	v_fma_f64 v[18:19], v[41:42], -0.5, v[8:9]
	v_add_f64 v[41:42], v[12:13], -v[14:15]
	v_fma_f64 v[8:9], v[26:27], -0.5, v[8:9]
	v_add_f64 v[26:27], v[4:5], -v[10:11]
	v_add_f64 v[12:13], v[14:15], -v[12:13]
	v_add_f64 v[14:15], v[43:44], v[14:15]
	s_mov_b32 s14, s10
	v_add_f64 v[45:46], v[10:11], -v[4:5]
	v_fma_f64 v[43:44], v[22:23], s[10:11], v[18:19]
	v_fma_f64 v[18:19], v[22:23], s[14:15], v[18:19]
	;; [unrolled: 1-line block ×4, first 2 shown]
	s_mov_b32 s12, 0x4755a5e
	s_mov_b32 s13, 0x3fe2cf23
	v_add_f64 v[26:27], v[41:42], v[26:27]
	v_add_f64 v[10:11], v[14:15], v[10:11]
	v_fma_f64 v[14:15], v[16:17], s[12:13], v[43:44]
	s_mov_b32 s11, 0xbfe2cf23
	s_mov_b32 s10, s12
	v_fma_f64 v[41:42], v[22:23], s[12:13], v[47:48]
	v_add_f64 v[12:13], v[12:13], v[45:46]
	v_fma_f64 v[8:9], v[22:23], s[10:11], v[8:9]
	v_fma_f64 v[16:17], v[16:17], s[10:11], v[18:19]
	s_mov_b32 s10, 0x372fe950
	s_mov_b32 s11, 0x3fd3c6ef
	v_add_f64 v[4:5], v[10:11], v[4:5]
	v_fma_f64 v[10:11], v[26:27], s[10:11], v[14:15]
	v_fma_f64 v[14:15], v[12:13], s[10:11], v[41:42]
	;; [unrolled: 1-line block ×4, first 2 shown]
	v_mov_b32_e32 v16, 3
	v_lshlrev_b32_sdwa v16, v16, v28 dst_sel:DWORD dst_unused:UNUSED_PAD src0_sel:DWORD src1_sel:BYTE_0
	v_add3_u32 v16, v29, v16, v38
	ds_write2_b64 v16, v[4:5], v[10:11] offset1:5
	ds_write2_b64 v16, v[14:15], v[8:9] offset0:10 offset1:15
	ds_write_b64 v16, v[12:13] offset:160
.LBB0_27:
	s_or_b64 exec, exec, s[6:7]
	v_mul_i32_i24_e32 v12, 3, v37
	v_mov_b32_e32 v13, 0
	v_lshlrev_b64 v[12:13], 4, v[12:13]
	s_waitcnt lgkmcnt(0)
	v_add_co_u32_e32 v38, vcc, s8, v12
	v_mov_b32_e32 v12, s9
	s_barrier
	ds_read_b64 v[4:5], v40
	ds_read2_b64 v[8:11], v39 offset0:25 offset1:50
	ds_read_b64 v[22:23], v39 offset:600
	v_addc_co_u32_e32 v39, vcc, v12, v13, vcc
	global_load_dwordx4 v[12:15], v[38:39], off offset:352
	global_load_dwordx4 v[16:19], v[38:39], off offset:336
	;; [unrolled: 1-line block ×3, first 2 shown]
	s_waitcnt vmcnt(0) lgkmcnt(1)
	v_mul_f64 v[38:39], v[8:9], v[28:29]
	v_fma_f64 v[38:39], v[0:1], v[26:27], v[38:39]
	v_mul_f64 v[0:1], v[0:1], v[28:29]
	v_add_u32_e32 v28, s4, v36
	v_mul_lo_u32 v29, v28, v37
	s_add_i32 s4, 0, 0x1900
	v_mul_lo_u32 v28, v28, 25
	v_fma_f64 v[0:1], v[8:9], v[26:27], -v[0:1]
	v_mul_f64 v[8:9], v[10:11], v[18:19]
	v_fma_f64 v[8:9], v[2:3], v[16:17], v[8:9]
	v_mul_f64 v[2:3], v[2:3], v[18:19]
	v_add_f64 v[8:9], v[6:7], -v[8:9]
	v_fma_f64 v[2:3], v[10:11], v[16:17], -v[2:3]
	s_waitcnt lgkmcnt(0)
	v_mul_f64 v[10:11], v[22:23], v[14:15]
	v_mul_f64 v[14:15], v[20:21], v[14:15]
	v_fma_f64 v[6:7], v[6:7], 2.0, -v[8:9]
	v_add_f64 v[2:3], v[4:5], -v[2:3]
	v_fma_f64 v[10:11], v[20:21], v[12:13], v[10:11]
	v_fma_f64 v[12:13], v[22:23], v[12:13], -v[14:15]
	v_fma_f64 v[4:5], v[4:5], 2.0, -v[2:3]
	v_add_f64 v[10:11], v[38:39], -v[10:11]
	v_add_f64 v[12:13], v[0:1], -v[12:13]
	v_fma_f64 v[14:15], v[38:39], 2.0, -v[10:11]
	v_fma_f64 v[0:1], v[0:1], 2.0, -v[12:13]
	v_add_f64 v[20:21], v[6:7], -v[14:15]
	v_add_f64 v[22:23], v[4:5], -v[0:1]
	v_and_b32_e32 v0, 63, v29
	v_lshl_add_u32 v0, v0, 4, 0
	v_fma_f64 v[14:15], v[6:7], 2.0, -v[20:21]
	v_add_f64 v[6:7], v[8:9], v[12:13]
	v_fma_f64 v[16:17], v[4:5], 2.0, -v[22:23]
	v_add_f64 v[4:5], v[2:3], -v[10:11]
	v_fma_f64 v[18:19], v[8:9], 2.0, -v[6:7]
	v_lshrrev_b32_e32 v8, 2, v29
	v_and_b32_e32 v8, 0x3f0, v8
	v_add_u32_e32 v8, s4, v8
	v_fma_f64 v[26:27], v[2:3], 2.0, -v[4:5]
	ds_read_b128 v[0:3], v0 offset:6400
	ds_read_b128 v[8:11], v8 offset:1024
	s_waitcnt lgkmcnt(0)
	v_mul_f64 v[12:13], v[2:3], v[10:11]
	v_fma_f64 v[12:13], v[0:1], v[8:9], -v[12:13]
	v_mul_f64 v[0:1], v[0:1], v[10:11]
	v_fma_f64 v[8:9], v[2:3], v[8:9], v[0:1]
	v_lshrrev_b32_e32 v0, 8, v29
	v_and_b32_e32 v0, 0x3f0, v0
	v_add_u32_e32 v0, s4, v0
	ds_read_b128 v[0:3], v0 offset:2048
	v_add_u32_e32 v29, v29, v28
	s_waitcnt lgkmcnt(0)
	v_mul_f64 v[10:11], v[8:9], v[2:3]
	v_mul_f64 v[2:3], v[12:13], v[2:3]
	v_fma_f64 v[10:11], v[0:1], v[12:13], -v[10:11]
	v_fma_f64 v[2:3], v[0:1], v[8:9], v[2:3]
	v_lshrrev_b32_e32 v12, 2, v29
	v_and_b32_e32 v8, 63, v29
	v_and_b32_e32 v12, 0x3f0, v12
	v_lshl_add_u32 v8, v8, 4, 0
	v_add_u32_e32 v12, s4, v12
	v_mul_f64 v[0:1], v[16:17], v[2:3]
	v_mul_f64 v[2:3], v[14:15], v[2:3]
	v_fma_f64 v[0:1], v[14:15], v[10:11], v[0:1]
	v_fma_f64 v[2:3], v[16:17], v[10:11], -v[2:3]
	ds_read_b128 v[8:11], v8 offset:6400
	ds_read_b128 v[12:15], v12 offset:1024
	s_waitcnt lgkmcnt(0)
	v_mul_f64 v[16:17], v[10:11], v[14:15]
	v_fma_f64 v[16:17], v[8:9], v[12:13], -v[16:17]
	v_mul_f64 v[8:9], v[8:9], v[14:15]
	v_fma_f64 v[12:13], v[10:11], v[12:13], v[8:9]
	v_lshrrev_b32_e32 v8, 8, v29
	v_and_b32_e32 v8, 0x3f0, v8
	v_add_u32_e32 v8, s4, v8
	ds_read_b128 v[8:11], v8 offset:2048
	v_add_u32_e32 v29, v29, v28
	v_add_u32_e32 v28, v29, v28
	s_waitcnt lgkmcnt(0)
	v_mul_f64 v[14:15], v[12:13], v[10:11]
	v_mul_f64 v[10:11], v[16:17], v[10:11]
	v_fma_f64 v[14:15], v[8:9], v[16:17], -v[14:15]
	v_fma_f64 v[10:11], v[8:9], v[12:13], v[10:11]
	v_lshrrev_b32_e32 v16, 2, v29
	v_and_b32_e32 v12, 63, v29
	v_and_b32_e32 v16, 0x3f0, v16
	v_lshl_add_u32 v12, v12, 4, 0
	v_add_u32_e32 v16, s4, v16
	v_mul_f64 v[8:9], v[26:27], v[10:11]
	v_mul_f64 v[10:11], v[18:19], v[10:11]
	v_fma_f64 v[8:9], v[18:19], v[14:15], v[8:9]
	v_fma_f64 v[10:11], v[26:27], v[14:15], -v[10:11]
	ds_read_b128 v[12:15], v12 offset:6400
	ds_read_b128 v[16:19], v16 offset:1024
	s_waitcnt lgkmcnt(0)
	v_mul_f64 v[26:27], v[14:15], v[18:19]
	v_fma_f64 v[26:27], v[12:13], v[16:17], -v[26:27]
	v_mul_f64 v[12:13], v[12:13], v[18:19]
	v_fma_f64 v[16:17], v[14:15], v[16:17], v[12:13]
	v_lshrrev_b32_e32 v12, 8, v29
	v_and_b32_e32 v12, 0x3f0, v12
	v_add_u32_e32 v12, s4, v12
	ds_read_b128 v[12:15], v12 offset:2048
	s_waitcnt lgkmcnt(0)
	v_mul_f64 v[18:19], v[16:17], v[14:15]
	v_mul_f64 v[14:15], v[26:27], v[14:15]
	v_fma_f64 v[18:19], v[12:13], v[26:27], -v[18:19]
	v_fma_f64 v[14:15], v[12:13], v[16:17], v[14:15]
	v_and_b32_e32 v16, 63, v28
	v_lshl_add_u32 v16, v16, 4, 0
	v_mul_f64 v[12:13], v[22:23], v[14:15]
	v_mul_f64 v[14:15], v[20:21], v[14:15]
	v_fma_f64 v[12:13], v[20:21], v[18:19], v[12:13]
	v_lshrrev_b32_e32 v20, 2, v28
	v_and_b32_e32 v20, 0x3f0, v20
	v_add_u32_e32 v20, s4, v20
	v_fma_f64 v[14:15], v[22:23], v[18:19], -v[14:15]
	ds_read_b128 v[16:19], v16 offset:6400
	ds_read_b128 v[20:23], v20 offset:1024
	s_waitcnt lgkmcnt(0)
	v_mul_f64 v[26:27], v[18:19], v[22:23]
	v_fma_f64 v[26:27], v[16:17], v[20:21], -v[26:27]
	v_mul_f64 v[16:17], v[16:17], v[22:23]
	v_fma_f64 v[20:21], v[18:19], v[20:21], v[16:17]
	v_lshrrev_b32_e32 v16, 8, v28
	v_and_b32_e32 v16, 0x3f0, v16
	v_add_u32_e32 v16, s4, v16
	ds_read_b128 v[16:19], v16 offset:2048
	s_waitcnt lgkmcnt(0)
	s_barrier
	v_mul_f64 v[22:23], v[20:21], v[18:19]
	v_mul_f64 v[18:19], v[26:27], v[18:19]
	v_fma_f64 v[22:23], v[16:17], v[26:27], -v[22:23]
	v_fma_f64 v[18:19], v[16:17], v[20:21], v[18:19]
	v_mul_f64 v[16:17], v[4:5], v[18:19]
	v_fma_f64 v[16:17], v[6:7], v[22:23], v[16:17]
	v_mul_f64 v[6:7], v[6:7], v[18:19]
	v_fma_f64 v[18:19], v[4:5], v[22:23], -v[6:7]
	ds_write_b128 v35, v[0:3]
	ds_write_b128 v35, v[8:11] offset:400
	ds_write_b128 v35, v[12:15] offset:800
	;; [unrolled: 1-line block ×3, first 2 shown]
	s_waitcnt lgkmcnt(0)
	s_barrier
	s_and_saveexec_b64 s[4:5], s[0:1]
	s_cbranch_execz .LBB0_29
; %bb.28:
	v_mad_u64_u32 v[4:5], s[0:1], s18, v33, 0
	v_mad_u64_u32 v[6:7], s[0:1], s16, v30, 0
	v_mov_b32_e32 v0, v5
	v_mad_u64_u32 v[0:1], s[0:1], s19, v33, v[0:1]
	v_mov_b32_e32 v1, v7
	;; [unrolled: 2-line block ×3, first 2 shown]
	v_add_co_u32_e32 v10, vcc, s2, v24
	v_mov_b32_e32 v5, v0
	v_addc_co_u32_e32 v11, vcc, v8, v25, vcc
	v_mad_u64_u32 v[8:9], s[0:1], s16, v32, 0
	v_lshlrev_b64 v[4:5], 4, v[4:5]
	v_mul_u32_u24_e32 v0, 0x640, v33
	v_mov_b32_e32 v7, v1
	v_add3_u32 v13, 0, v0, v34
	v_add_co_u32_e32 v14, vcc, v10, v4
	ds_read_b128 v[0:3], v13
	v_addc_co_u32_e32 v15, vcc, v11, v5, vcc
	v_lshlrev_b64 v[4:5], 4, v[6:7]
	v_mov_b32_e32 v6, v9
	v_mad_u64_u32 v[9:10], s[0:1], s17, v32, v[6:7]
	v_add_co_u32_e32 v10, vcc, v14, v4
	v_addc_co_u32_e32 v11, vcc, v15, v5, vcc
	ds_read_b128 v[4:7], v13 offset:400
	s_waitcnt lgkmcnt(1)
	global_store_dwordx4 v[10:11], v[0:3], off
	s_nop 0
	v_lshlrev_b64 v[0:1], 4, v[8:9]
	v_mad_u64_u32 v[8:9], s[0:1], s16, v31, 0
	v_add_co_u32_e32 v0, vcc, v14, v0
	v_addc_co_u32_e32 v1, vcc, v15, v1, vcc
	s_waitcnt lgkmcnt(0)
	global_store_dwordx4 v[0:1], v[4:7], off
	v_mov_b32_e32 v0, v9
	v_add_u32_e32 v7, 0x4b, v30
	v_mad_u64_u32 v[0:1], s[0:1], s17, v31, v[0:1]
	v_mad_u64_u32 v[10:11], s[0:1], s16, v7, 0
	v_mov_b32_e32 v9, v0
	ds_read_b128 v[0:3], v13 offset:800
	v_mov_b32_e32 v6, v11
	v_lshlrev_b64 v[4:5], 4, v[8:9]
	v_mad_u64_u32 v[8:9], s[0:1], s17, v7, v[6:7]
	v_add_co_u32_e32 v11, vcc, v14, v4
	v_addc_co_u32_e32 v12, vcc, v15, v5, vcc
	ds_read_b128 v[4:7], v13 offset:1200
	s_waitcnt lgkmcnt(1)
	global_store_dwordx4 v[11:12], v[0:3], off
	v_mov_b32_e32 v11, v8
	v_lshlrev_b64 v[0:1], 4, v[10:11]
	v_add_co_u32_e32 v0, vcc, v14, v0
	v_addc_co_u32_e32 v1, vcc, v15, v1, vcc
	s_waitcnt lgkmcnt(0)
	global_store_dwordx4 v[0:1], v[4:7], off
.LBB0_29:
	s_endpgm
	.section	.rodata,"a",@progbits
	.p2align	6, 0x0
	.amdhsa_kernel fft_rtc_back_len100_factors_5_5_4_wgs_200_tpt_25_halfLds_dp_ip_CI_sbcc_twdbase6_3step
		.amdhsa_group_segment_fixed_size 0
		.amdhsa_private_segment_fixed_size 0
		.amdhsa_kernarg_size 96
		.amdhsa_user_sgpr_count 6
		.amdhsa_user_sgpr_private_segment_buffer 1
		.amdhsa_user_sgpr_dispatch_ptr 0
		.amdhsa_user_sgpr_queue_ptr 0
		.amdhsa_user_sgpr_kernarg_segment_ptr 1
		.amdhsa_user_sgpr_dispatch_id 0
		.amdhsa_user_sgpr_flat_scratch_init 0
		.amdhsa_user_sgpr_private_segment_size 0
		.amdhsa_uses_dynamic_stack 0
		.amdhsa_system_sgpr_private_segment_wavefront_offset 0
		.amdhsa_system_sgpr_workgroup_id_x 1
		.amdhsa_system_sgpr_workgroup_id_y 0
		.amdhsa_system_sgpr_workgroup_id_z 0
		.amdhsa_system_sgpr_workgroup_info 0
		.amdhsa_system_vgpr_workitem_id 0
		.amdhsa_next_free_vgpr 60
		.amdhsa_next_free_sgpr 41
		.amdhsa_reserve_vcc 1
		.amdhsa_reserve_flat_scratch 0
		.amdhsa_float_round_mode_32 0
		.amdhsa_float_round_mode_16_64 0
		.amdhsa_float_denorm_mode_32 3
		.amdhsa_float_denorm_mode_16_64 3
		.amdhsa_dx10_clamp 1
		.amdhsa_ieee_mode 1
		.amdhsa_fp16_overflow 0
		.amdhsa_exception_fp_ieee_invalid_op 0
		.amdhsa_exception_fp_denorm_src 0
		.amdhsa_exception_fp_ieee_div_zero 0
		.amdhsa_exception_fp_ieee_overflow 0
		.amdhsa_exception_fp_ieee_underflow 0
		.amdhsa_exception_fp_ieee_inexact 0
		.amdhsa_exception_int_div_zero 0
	.end_amdhsa_kernel
	.text
.Lfunc_end0:
	.size	fft_rtc_back_len100_factors_5_5_4_wgs_200_tpt_25_halfLds_dp_ip_CI_sbcc_twdbase6_3step, .Lfunc_end0-fft_rtc_back_len100_factors_5_5_4_wgs_200_tpt_25_halfLds_dp_ip_CI_sbcc_twdbase6_3step
                                        ; -- End function
	.section	.AMDGPU.csdata,"",@progbits
; Kernel info:
; codeLenInByte = 5052
; NumSgprs: 45
; NumVgprs: 60
; ScratchSize: 0
; MemoryBound: 0
; FloatMode: 240
; IeeeMode: 1
; LDSByteSize: 0 bytes/workgroup (compile time only)
; SGPRBlocks: 5
; VGPRBlocks: 14
; NumSGPRsForWavesPerEU: 45
; NumVGPRsForWavesPerEU: 60
; Occupancy: 4
; WaveLimiterHint : 1
; COMPUTE_PGM_RSRC2:SCRATCH_EN: 0
; COMPUTE_PGM_RSRC2:USER_SGPR: 6
; COMPUTE_PGM_RSRC2:TRAP_HANDLER: 0
; COMPUTE_PGM_RSRC2:TGID_X_EN: 1
; COMPUTE_PGM_RSRC2:TGID_Y_EN: 0
; COMPUTE_PGM_RSRC2:TGID_Z_EN: 0
; COMPUTE_PGM_RSRC2:TIDIG_COMP_CNT: 0
	.type	__hip_cuid_868be7f6d31c0807,@object ; @__hip_cuid_868be7f6d31c0807
	.section	.bss,"aw",@nobits
	.globl	__hip_cuid_868be7f6d31c0807
__hip_cuid_868be7f6d31c0807:
	.byte	0                               ; 0x0
	.size	__hip_cuid_868be7f6d31c0807, 1

	.ident	"AMD clang version 19.0.0git (https://github.com/RadeonOpenCompute/llvm-project roc-6.4.0 25133 c7fe45cf4b819c5991fe208aaa96edf142730f1d)"
	.section	".note.GNU-stack","",@progbits
	.addrsig
	.addrsig_sym __hip_cuid_868be7f6d31c0807
	.amdgpu_metadata
---
amdhsa.kernels:
  - .args:
      - .actual_access:  read_only
        .address_space:  global
        .offset:         0
        .size:           8
        .value_kind:     global_buffer
      - .address_space:  global
        .offset:         8
        .size:           8
        .value_kind:     global_buffer
      - .offset:         16
        .size:           8
        .value_kind:     by_value
      - .actual_access:  read_only
        .address_space:  global
        .offset:         24
        .size:           8
        .value_kind:     global_buffer
      - .actual_access:  read_only
        .address_space:  global
        .offset:         32
        .size:           8
        .value_kind:     global_buffer
      - .offset:         40
        .size:           8
        .value_kind:     by_value
      - .actual_access:  read_only
        .address_space:  global
        .offset:         48
        .size:           8
        .value_kind:     global_buffer
      - .actual_access:  read_only
        .address_space:  global
        .offset:         56
        .size:           8
        .value_kind:     global_buffer
      - .offset:         64
        .size:           4
        .value_kind:     by_value
      - .actual_access:  read_only
        .address_space:  global
        .offset:         72
        .size:           8
        .value_kind:     global_buffer
      - .actual_access:  read_only
        .address_space:  global
        .offset:         80
        .size:           8
        .value_kind:     global_buffer
      - .address_space:  global
        .offset:         88
        .size:           8
        .value_kind:     global_buffer
    .group_segment_fixed_size: 0
    .kernarg_segment_align: 8
    .kernarg_segment_size: 96
    .language:       OpenCL C
    .language_version:
      - 2
      - 0
    .max_flat_workgroup_size: 200
    .name:           fft_rtc_back_len100_factors_5_5_4_wgs_200_tpt_25_halfLds_dp_ip_CI_sbcc_twdbase6_3step
    .private_segment_fixed_size: 0
    .sgpr_count:     45
    .sgpr_spill_count: 0
    .symbol:         fft_rtc_back_len100_factors_5_5_4_wgs_200_tpt_25_halfLds_dp_ip_CI_sbcc_twdbase6_3step.kd
    .uniform_work_group_size: 1
    .uses_dynamic_stack: false
    .vgpr_count:     60
    .vgpr_spill_count: 0
    .wavefront_size: 64
amdhsa.target:   amdgcn-amd-amdhsa--gfx906
amdhsa.version:
  - 1
  - 2
...

	.end_amdgpu_metadata
